;; amdgpu-corpus repo=zjin-lcf/HeCBench kind=compiled arch=gfx1250 opt=O3
	.amdgcn_target "amdgcn-amd-amdhsa--gfx1250"
	.amdhsa_code_object_version 6
	.text
	.protected	_Z6mv_csrmPKmS0_PKfS2_Pf ; -- Begin function _Z6mv_csrmPKmS0_PKfS2_Pf
	.globl	_Z6mv_csrmPKmS0_PKfS2_Pf
	.p2align	8
	.type	_Z6mv_csrmPKmS0_PKfS2_Pf,@function
_Z6mv_csrmPKmS0_PKfS2_Pf:               ; @_Z6mv_csrmPKmS0_PKfS2_Pf
; %bb.0:
	s_load_b32 s2, s[0:1], 0x3c
	s_bfe_u32 s12, ttmp6, 0x4000c
	s_load_b256 s[4:11], s[0:1], 0x0
	s_add_co_i32 s12, s12, 1
	s_and_b32 s3, ttmp6, 15
	s_mul_i32 s12, ttmp9, s12
	s_getreg_b32 s13, hwreg(HW_REG_IB_STS2, 6, 4)
	s_add_co_i32 s3, s3, s12
	v_mov_b32_e32 v10, 0
	s_delay_alu instid0(VALU_DEP_1) | instskip(SKIP_4) | instid1(SALU_CYCLE_1)
	v_mov_b32_e32 v5, v10
	s_wait_kmcnt 0x0
	s_and_b32 s2, s2, 0xffff
	s_cmp_eq_u32 s13, 0
	s_cselect_b32 s3, ttmp9, s3
	v_mad_u32 v4, s3, s2, v0
	s_mov_b32 s2, exec_lo
	s_delay_alu instid0(VALU_DEP_1)
	v_cmpx_gt_u64_e64 s[4:5], v[4:5]
	s_cbranch_execz .LBB0_6
; %bb.1:
	v_lshl_add_u64 v[0:1], v[4:5], 3, s[6:7]
	s_load_b128 s[0:3], s[0:1], 0x20
	s_mov_b32 s4, exec_lo
	global_load_b128 v[0:3], v[0:1], off
	s_wait_loadcnt 0x0
	v_cmpx_lt_u64_e64 v[0:1], v[2:3]
	s_cbranch_execz .LBB0_5
; %bb.2:
	v_lshl_add_u64 v[6:7], v[0:1], 3, s[8:9]
	v_lshl_add_u64 v[8:9], v[0:1], 2, s[10:11]
	v_mov_b32_e32 v10, 0
	s_mov_b32 s5, 0
.LBB0_3:                                ; =>This Inner Loop Header: Depth=1
	global_load_b64 v[12:13], v[6:7], off
	v_add_nc_u64_e32 v[0:1], 1, v[0:1]
	s_wait_xcnt 0x0
	v_add_nc_u64_e32 v[6:7], 8, v[6:7]
	s_delay_alu instid0(VALU_DEP_2)
	v_cmp_ge_u64_e32 vcc_lo, v[0:1], v[2:3]
	s_or_b32 s5, vcc_lo, s5
	s_wait_loadcnt 0x0
	s_wait_kmcnt 0x0
	v_lshl_add_u64 v[12:13], v[12:13], 2, s[0:1]
	global_load_b32 v11, v[8:9], off
	global_load_b32 v14, v[12:13], off
	s_wait_xcnt 0x1
	v_add_nc_u64_e32 v[8:9], 4, v[8:9]
	s_wait_loadcnt 0x0
	v_fmac_f32_e32 v10, v11, v14
	s_and_not1_b32 exec_lo, exec_lo, s5
	s_cbranch_execnz .LBB0_3
; %bb.4:
	s_or_b32 exec_lo, exec_lo, s5
.LBB0_5:
	s_delay_alu instid0(SALU_CYCLE_1)
	s_or_b32 exec_lo, exec_lo, s4
	s_wait_kmcnt 0x0
	v_lshl_add_u64 v[0:1], v[4:5], 2, s[2:3]
	global_store_b32 v[0:1], v10, off
.LBB0_6:
	s_endpgm
	.section	.rodata,"a",@progbits
	.p2align	6, 0x0
	.amdhsa_kernel _Z6mv_csrmPKmS0_PKfS2_Pf
		.amdhsa_group_segment_fixed_size 0
		.amdhsa_private_segment_fixed_size 0
		.amdhsa_kernarg_size 304
		.amdhsa_user_sgpr_count 2
		.amdhsa_user_sgpr_dispatch_ptr 0
		.amdhsa_user_sgpr_queue_ptr 0
		.amdhsa_user_sgpr_kernarg_segment_ptr 1
		.amdhsa_user_sgpr_dispatch_id 0
		.amdhsa_user_sgpr_kernarg_preload_length 0
		.amdhsa_user_sgpr_kernarg_preload_offset 0
		.amdhsa_user_sgpr_private_segment_size 0
		.amdhsa_wavefront_size32 1
		.amdhsa_uses_dynamic_stack 0
		.amdhsa_enable_private_segment 0
		.amdhsa_system_sgpr_workgroup_id_x 1
		.amdhsa_system_sgpr_workgroup_id_y 0
		.amdhsa_system_sgpr_workgroup_id_z 0
		.amdhsa_system_sgpr_workgroup_info 0
		.amdhsa_system_vgpr_workitem_id 0
		.amdhsa_next_free_vgpr 15
		.amdhsa_next_free_sgpr 14
		.amdhsa_named_barrier_count 0
		.amdhsa_reserve_vcc 1
		.amdhsa_float_round_mode_32 0
		.amdhsa_float_round_mode_16_64 0
		.amdhsa_float_denorm_mode_32 3
		.amdhsa_float_denorm_mode_16_64 3
		.amdhsa_fp16_overflow 0
		.amdhsa_memory_ordered 1
		.amdhsa_forward_progress 1
		.amdhsa_inst_pref_size 3
		.amdhsa_round_robin_scheduling 0
		.amdhsa_exception_fp_ieee_invalid_op 0
		.amdhsa_exception_fp_denorm_src 0
		.amdhsa_exception_fp_ieee_div_zero 0
		.amdhsa_exception_fp_ieee_overflow 0
		.amdhsa_exception_fp_ieee_underflow 0
		.amdhsa_exception_fp_ieee_inexact 0
		.amdhsa_exception_int_div_zero 0
	.end_amdhsa_kernel
	.text
.Lfunc_end0:
	.size	_Z6mv_csrmPKmS0_PKfS2_Pf, .Lfunc_end0-_Z6mv_csrmPKmS0_PKfS2_Pf
                                        ; -- End function
	.set _Z6mv_csrmPKmS0_PKfS2_Pf.num_vgpr, 15
	.set _Z6mv_csrmPKmS0_PKfS2_Pf.num_agpr, 0
	.set _Z6mv_csrmPKmS0_PKfS2_Pf.numbered_sgpr, 14
	.set _Z6mv_csrmPKmS0_PKfS2_Pf.num_named_barrier, 0
	.set _Z6mv_csrmPKmS0_PKfS2_Pf.private_seg_size, 0
	.set _Z6mv_csrmPKmS0_PKfS2_Pf.uses_vcc, 1
	.set _Z6mv_csrmPKmS0_PKfS2_Pf.uses_flat_scratch, 0
	.set _Z6mv_csrmPKmS0_PKfS2_Pf.has_dyn_sized_stack, 0
	.set _Z6mv_csrmPKmS0_PKfS2_Pf.has_recursion, 0
	.set _Z6mv_csrmPKmS0_PKfS2_Pf.has_indirect_call, 0
	.section	.AMDGPU.csdata,"",@progbits
; Kernel info:
; codeLenInByte = 316
; TotalNumSgprs: 16
; NumVgprs: 15
; ScratchSize: 0
; MemoryBound: 0
; FloatMode: 240
; IeeeMode: 1
; LDSByteSize: 0 bytes/workgroup (compile time only)
; SGPRBlocks: 0
; VGPRBlocks: 0
; NumSGPRsForWavesPerEU: 16
; NumVGPRsForWavesPerEU: 15
; NamedBarCnt: 0
; Occupancy: 16
; WaveLimiterHint : 1
; COMPUTE_PGM_RSRC2:SCRATCH_EN: 0
; COMPUTE_PGM_RSRC2:USER_SGPR: 2
; COMPUTE_PGM_RSRC2:TRAP_HANDLER: 0
; COMPUTE_PGM_RSRC2:TGID_X_EN: 1
; COMPUTE_PGM_RSRC2:TGID_Y_EN: 0
; COMPUTE_PGM_RSRC2:TGID_Z_EN: 0
; COMPUTE_PGM_RSRC2:TIDIG_COMP_CNT: 0
	.text
	.protected	_Z8mv_densemPKfS0_Pf    ; -- Begin function _Z8mv_densemPKfS0_Pf
	.globl	_Z8mv_densemPKfS0_Pf
	.p2align	8
	.type	_Z8mv_densemPKfS0_Pf,@function
_Z8mv_densemPKfS0_Pf:                   ; @_Z8mv_densemPKfS0_Pf
; %bb.0:
	s_load_b32 s2, s[0:1], 0x2c
	s_bfe_u32 s12, ttmp6, 0x4000c
	s_load_b256 s[4:11], s[0:1], 0x0
	s_add_co_i32 s12, s12, 1
	s_and_b32 s3, ttmp6, 15
	s_wait_xcnt 0x0
	s_mul_i32 s1, ttmp9, s12
	s_getreg_b32 s0, hwreg(HW_REG_IB_STS2, 6, 4)
	s_add_co_i32 s3, s3, s1
	v_mov_b32_e32 v1, 0
	s_wait_kmcnt 0x0
	s_and_b32 s2, s2, 0xffff
	s_cmp_eq_u32 s0, 0
	s_cselect_b32 s0, ttmp9, s3
	s_delay_alu instid0(SALU_CYCLE_1) | instskip(SKIP_1) | instid1(VALU_DEP_1)
	v_mad_u32 v0, s0, s2, v0
	s_mov_b32 s0, exec_lo
	v_cmpx_gt_u64_e64 s[4:5], v[0:1]
	s_cbranch_execz .LBB1_6
; %bb.1:
	v_mul_u64_e32 v[2:3], s[4:5], v[0:1]
	v_mov_b32_e32 v4, v1
	s_delay_alu instid0(VALU_DEP_2)
	v_lshl_add_u64 v[2:3], v[2:3], 2, s[6:7]
	s_branch .LBB1_3
.LBB1_2:                                ;   in Loop: Header=BB1_3 Depth=1
	s_or_b32 exec_lo, exec_lo, s0
	v_add_nc_u64_e32 v[2:3], 4, v[2:3]
	s_add_nc_u64 s[4:5], s[4:5], -1
	s_add_nc_u64 s[8:9], s[8:9], 4
	s_cmp_eq_u64 s[4:5], 0
	s_cbranch_scc1 .LBB1_5
.LBB1_3:                                ; =>This Inner Loop Header: Depth=1
	global_load_b32 v5, v[2:3], off
	s_mov_b32 s0, exec_lo
	s_wait_loadcnt 0x0
	v_cmpx_neq_f32_e32 0, v5
	s_cbranch_execz .LBB1_2
; %bb.4:                                ;   in Loop: Header=BB1_3 Depth=1
	s_load_b32 s1, s[8:9], 0x0
	s_wait_kmcnt 0x0
	v_fmac_f32_e32 v4, s1, v5
	s_branch .LBB1_2
.LBB1_5:
	v_lshl_add_u64 v[0:1], v[0:1], 2, s[10:11]
	global_store_b32 v[0:1], v4, off
.LBB1_6:
	s_endpgm
	.section	.rodata,"a",@progbits
	.p2align	6, 0x0
	.amdhsa_kernel _Z8mv_densemPKfS0_Pf
		.amdhsa_group_segment_fixed_size 0
		.amdhsa_private_segment_fixed_size 0
		.amdhsa_kernarg_size 288
		.amdhsa_user_sgpr_count 2
		.amdhsa_user_sgpr_dispatch_ptr 0
		.amdhsa_user_sgpr_queue_ptr 0
		.amdhsa_user_sgpr_kernarg_segment_ptr 1
		.amdhsa_user_sgpr_dispatch_id 0
		.amdhsa_user_sgpr_kernarg_preload_length 0
		.amdhsa_user_sgpr_kernarg_preload_offset 0
		.amdhsa_user_sgpr_private_segment_size 0
		.amdhsa_wavefront_size32 1
		.amdhsa_uses_dynamic_stack 0
		.amdhsa_enable_private_segment 0
		.amdhsa_system_sgpr_workgroup_id_x 1
		.amdhsa_system_sgpr_workgroup_id_y 0
		.amdhsa_system_sgpr_workgroup_id_z 0
		.amdhsa_system_sgpr_workgroup_info 0
		.amdhsa_system_vgpr_workitem_id 0
		.amdhsa_next_free_vgpr 6
		.amdhsa_next_free_sgpr 13
		.amdhsa_named_barrier_count 0
		.amdhsa_reserve_vcc 0
		.amdhsa_float_round_mode_32 0
		.amdhsa_float_round_mode_16_64 0
		.amdhsa_float_denorm_mode_32 3
		.amdhsa_float_denorm_mode_16_64 3
		.amdhsa_fp16_overflow 0
		.amdhsa_memory_ordered 1
		.amdhsa_forward_progress 1
		.amdhsa_inst_pref_size 2
		.amdhsa_round_robin_scheduling 0
		.amdhsa_exception_fp_ieee_invalid_op 0
		.amdhsa_exception_fp_denorm_src 0
		.amdhsa_exception_fp_ieee_div_zero 0
		.amdhsa_exception_fp_ieee_overflow 0
		.amdhsa_exception_fp_ieee_underflow 0
		.amdhsa_exception_fp_ieee_inexact 0
		.amdhsa_exception_int_div_zero 0
	.end_amdhsa_kernel
	.text
.Lfunc_end1:
	.size	_Z8mv_densemPKfS0_Pf, .Lfunc_end1-_Z8mv_densemPKfS0_Pf
                                        ; -- End function
	.set _Z8mv_densemPKfS0_Pf.num_vgpr, 6
	.set _Z8mv_densemPKfS0_Pf.num_agpr, 0
	.set _Z8mv_densemPKfS0_Pf.numbered_sgpr, 13
	.set _Z8mv_densemPKfS0_Pf.num_named_barrier, 0
	.set _Z8mv_densemPKfS0_Pf.private_seg_size, 0
	.set _Z8mv_densemPKfS0_Pf.uses_vcc, 0
	.set _Z8mv_densemPKfS0_Pf.uses_flat_scratch, 0
	.set _Z8mv_densemPKfS0_Pf.has_dyn_sized_stack, 0
	.set _Z8mv_densemPKfS0_Pf.has_recursion, 0
	.set _Z8mv_densemPKfS0_Pf.has_indirect_call, 0
	.section	.AMDGPU.csdata,"",@progbits
; Kernel info:
; codeLenInByte = 220
; TotalNumSgprs: 13
; NumVgprs: 6
; ScratchSize: 0
; MemoryBound: 0
; FloatMode: 240
; IeeeMode: 1
; LDSByteSize: 0 bytes/workgroup (compile time only)
; SGPRBlocks: 0
; VGPRBlocks: 0
; NumSGPRsForWavesPerEU: 13
; NumVGPRsForWavesPerEU: 6
; NamedBarCnt: 0
; Occupancy: 16
; WaveLimiterHint : 0
; COMPUTE_PGM_RSRC2:SCRATCH_EN: 0
; COMPUTE_PGM_RSRC2:USER_SGPR: 2
; COMPUTE_PGM_RSRC2:TRAP_HANDLER: 0
; COMPUTE_PGM_RSRC2:TGID_X_EN: 1
; COMPUTE_PGM_RSRC2:TGID_Y_EN: 0
; COMPUTE_PGM_RSRC2:TGID_Z_EN: 0
; COMPUTE_PGM_RSRC2:TIDIG_COMP_CNT: 0
	.section	.text._Z13vector_mv_csrILi2EEvmPKmS1_PKfS3_Pf,"axG",@progbits,_Z13vector_mv_csrILi2EEvmPKmS1_PKfS3_Pf,comdat
	.protected	_Z13vector_mv_csrILi2EEvmPKmS1_PKfS3_Pf ; -- Begin function _Z13vector_mv_csrILi2EEvmPKmS1_PKfS3_Pf
	.globl	_Z13vector_mv_csrILi2EEvmPKmS1_PKfS3_Pf
	.p2align	8
	.type	_Z13vector_mv_csrILi2EEvmPKmS1_PKfS3_Pf,@function
_Z13vector_mv_csrILi2EEvmPKmS1_PKfS3_Pf: ; @_Z13vector_mv_csrILi2EEvmPKmS1_PKfS3_Pf
; %bb.0:
	s_load_u16 s2, s[0:1], 0x3e
	s_bfe_u32 s3, ttmp6, 0x4000c
	s_load_b256 s[4:11], s[0:1], 0x0
	s_add_co_i32 s3, s3, 1
	s_and_b32 s12, ttmp6, 15
	s_mul_i32 s3, ttmp9, s3
	v_bfe_u32 v1, v0, 10, 10
	s_add_co_i32 s12, s12, s3
	s_getreg_b32 s3, hwreg(HW_REG_IB_STS2, 6, 4)
	s_delay_alu instid0(SALU_CYCLE_1)
	s_cmp_eq_u32 s3, 0
	s_cselect_b32 s3, ttmp9, s12
	s_wait_kmcnt 0x0
	v_mad_u32 v6, s3, s2, v1
	v_mov_b32_e32 v1, 0
	s_mov_b32 s2, exec_lo
	s_delay_alu instid0(VALU_DEP_1) | instskip(NEXT) | instid1(VALU_DEP_1)
	v_mov_b32_e32 v7, v1
	v_cmpx_gt_u64_e64 s[4:5], v[6:7]
	s_cbranch_execz .LBB2_6
; %bb.1:
	v_lshl_add_u64 v[2:3], v[6:7], 3, s[6:7]
	s_load_b128 s[0:3], s[0:1], 0x20
	v_and_b32_e32 v0, 0x3ff, v0
	s_mov_b32 s4, exec_lo
	global_load_b128 v[2:5], v[2:3], off
	s_wait_loadcnt 0x0
	v_add_nc_u64_e32 v[2:3], v[2:3], v[0:1]
	s_delay_alu instid0(VALU_DEP_1)
	v_cmpx_lt_u64_e64 v[2:3], v[4:5]
	s_cbranch_execz .LBB2_5
; %bb.2:
	v_lshl_add_u64 v[8:9], v[2:3], 3, s[8:9]
	v_lshl_add_u64 v[10:11], v[2:3], 2, s[10:11]
	v_mov_b32_e32 v1, 0
	s_mov_b32 s5, 0
.LBB2_3:                                ; =>This Inner Loop Header: Depth=1
	global_load_b64 v[12:13], v[8:9], off
	v_add_nc_u64_e32 v[2:3], 2, v[2:3]
	s_wait_xcnt 0x0
	v_add_nc_u64_e32 v[8:9], 16, v[8:9]
	s_delay_alu instid0(VALU_DEP_2)
	v_cmp_ge_u64_e32 vcc_lo, v[2:3], v[4:5]
	s_or_b32 s5, vcc_lo, s5
	s_wait_loadcnt 0x0
	s_wait_kmcnt 0x0
	v_lshl_add_u64 v[12:13], v[12:13], 2, s[0:1]
	global_load_b32 v0, v[10:11], off
	global_load_b32 v14, v[12:13], off
	s_wait_xcnt 0x1
	v_add_nc_u64_e32 v[10:11], 8, v[10:11]
	s_wait_loadcnt 0x0
	v_fmac_f32_e32 v1, v0, v14
	s_and_not1_b32 exec_lo, exec_lo, s5
	s_cbranch_execnz .LBB2_3
; %bb.4:
	s_or_b32 exec_lo, exec_lo, s5
.LBB2_5:
	s_delay_alu instid0(SALU_CYCLE_1) | instskip(SKIP_1) | instid1(VALU_DEP_1)
	s_or_b32 exec_lo, exec_lo, s4
	v_mbcnt_lo_u32_b32 v0, -1, 0
	v_lshl_or_b32 v0, v0, 2, 4
	ds_bpermute_b32 v0, v0, v1
	s_wait_dscnt 0x0
	v_add_f32_e32 v2, v1, v0
	s_wait_kmcnt 0x0
	v_lshl_add_u64 v[0:1], v[6:7], 2, s[2:3]
	global_store_b32 v[0:1], v2, off
.LBB2_6:
	s_endpgm
	.section	.rodata,"a",@progbits
	.p2align	6, 0x0
	.amdhsa_kernel _Z13vector_mv_csrILi2EEvmPKmS1_PKfS3_Pf
		.amdhsa_group_segment_fixed_size 0
		.amdhsa_private_segment_fixed_size 0
		.amdhsa_kernarg_size 304
		.amdhsa_user_sgpr_count 2
		.amdhsa_user_sgpr_dispatch_ptr 0
		.amdhsa_user_sgpr_queue_ptr 0
		.amdhsa_user_sgpr_kernarg_segment_ptr 1
		.amdhsa_user_sgpr_dispatch_id 0
		.amdhsa_user_sgpr_kernarg_preload_length 0
		.amdhsa_user_sgpr_kernarg_preload_offset 0
		.amdhsa_user_sgpr_private_segment_size 0
		.amdhsa_wavefront_size32 1
		.amdhsa_uses_dynamic_stack 0
		.amdhsa_enable_private_segment 0
		.amdhsa_system_sgpr_workgroup_id_x 1
		.amdhsa_system_sgpr_workgroup_id_y 0
		.amdhsa_system_sgpr_workgroup_id_z 0
		.amdhsa_system_sgpr_workgroup_info 0
		.amdhsa_system_vgpr_workitem_id 1
		.amdhsa_next_free_vgpr 15
		.amdhsa_next_free_sgpr 13
		.amdhsa_named_barrier_count 0
		.amdhsa_reserve_vcc 1
		.amdhsa_float_round_mode_32 0
		.amdhsa_float_round_mode_16_64 0
		.amdhsa_float_denorm_mode_32 3
		.amdhsa_float_denorm_mode_16_64 3
		.amdhsa_fp16_overflow 0
		.amdhsa_memory_ordered 1
		.amdhsa_forward_progress 1
		.amdhsa_inst_pref_size 3
		.amdhsa_round_robin_scheduling 0
		.amdhsa_exception_fp_ieee_invalid_op 0
		.amdhsa_exception_fp_denorm_src 0
		.amdhsa_exception_fp_ieee_div_zero 0
		.amdhsa_exception_fp_ieee_overflow 0
		.amdhsa_exception_fp_ieee_underflow 0
		.amdhsa_exception_fp_ieee_inexact 0
		.amdhsa_exception_int_div_zero 0
	.end_amdhsa_kernel
	.section	.text._Z13vector_mv_csrILi2EEvmPKmS1_PKfS3_Pf,"axG",@progbits,_Z13vector_mv_csrILi2EEvmPKmS1_PKfS3_Pf,comdat
.Lfunc_end2:
	.size	_Z13vector_mv_csrILi2EEvmPKmS1_PKfS3_Pf, .Lfunc_end2-_Z13vector_mv_csrILi2EEvmPKmS1_PKfS3_Pf
                                        ; -- End function
	.set _Z13vector_mv_csrILi2EEvmPKmS1_PKfS3_Pf.num_vgpr, 15
	.set _Z13vector_mv_csrILi2EEvmPKmS1_PKfS3_Pf.num_agpr, 0
	.set _Z13vector_mv_csrILi2EEvmPKmS1_PKfS3_Pf.numbered_sgpr, 13
	.set _Z13vector_mv_csrILi2EEvmPKmS1_PKfS3_Pf.num_named_barrier, 0
	.set _Z13vector_mv_csrILi2EEvmPKmS1_PKfS3_Pf.private_seg_size, 0
	.set _Z13vector_mv_csrILi2EEvmPKmS1_PKfS3_Pf.uses_vcc, 1
	.set _Z13vector_mv_csrILi2EEvmPKmS1_PKfS3_Pf.uses_flat_scratch, 0
	.set _Z13vector_mv_csrILi2EEvmPKmS1_PKfS3_Pf.has_dyn_sized_stack, 0
	.set _Z13vector_mv_csrILi2EEvmPKmS1_PKfS3_Pf.has_recursion, 0
	.set _Z13vector_mv_csrILi2EEvmPKmS1_PKfS3_Pf.has_indirect_call, 0
	.section	.AMDGPU.csdata,"",@progbits
; Kernel info:
; codeLenInByte = 364
; TotalNumSgprs: 15
; NumVgprs: 15
; ScratchSize: 0
; MemoryBound: 0
; FloatMode: 240
; IeeeMode: 1
; LDSByteSize: 0 bytes/workgroup (compile time only)
; SGPRBlocks: 0
; VGPRBlocks: 0
; NumSGPRsForWavesPerEU: 15
; NumVGPRsForWavesPerEU: 15
; NamedBarCnt: 0
; Occupancy: 16
; WaveLimiterHint : 1
; COMPUTE_PGM_RSRC2:SCRATCH_EN: 0
; COMPUTE_PGM_RSRC2:USER_SGPR: 2
; COMPUTE_PGM_RSRC2:TRAP_HANDLER: 0
; COMPUTE_PGM_RSRC2:TGID_X_EN: 1
; COMPUTE_PGM_RSRC2:TGID_Y_EN: 0
; COMPUTE_PGM_RSRC2:TGID_Z_EN: 0
; COMPUTE_PGM_RSRC2:TIDIG_COMP_CNT: 1
	.section	.text._Z13vector_mv_csrILi4EEvmPKmS1_PKfS3_Pf,"axG",@progbits,_Z13vector_mv_csrILi4EEvmPKmS1_PKfS3_Pf,comdat
	.protected	_Z13vector_mv_csrILi4EEvmPKmS1_PKfS3_Pf ; -- Begin function _Z13vector_mv_csrILi4EEvmPKmS1_PKfS3_Pf
	.globl	_Z13vector_mv_csrILi4EEvmPKmS1_PKfS3_Pf
	.p2align	8
	.type	_Z13vector_mv_csrILi4EEvmPKmS1_PKfS3_Pf,@function
_Z13vector_mv_csrILi4EEvmPKmS1_PKfS3_Pf: ; @_Z13vector_mv_csrILi4EEvmPKmS1_PKfS3_Pf
; %bb.0:
	s_load_u16 s2, s[0:1], 0x3e
	s_bfe_u32 s3, ttmp6, 0x4000c
	s_load_b256 s[4:11], s[0:1], 0x0
	s_add_co_i32 s3, s3, 1
	s_and_b32 s12, ttmp6, 15
	s_mul_i32 s3, ttmp9, s3
	v_bfe_u32 v1, v0, 10, 10
	s_add_co_i32 s12, s12, s3
	s_getreg_b32 s3, hwreg(HW_REG_IB_STS2, 6, 4)
	s_delay_alu instid0(SALU_CYCLE_1)
	s_cmp_eq_u32 s3, 0
	s_cselect_b32 s3, ttmp9, s12
	s_wait_kmcnt 0x0
	v_mad_u32 v6, s3, s2, v1
	v_mov_b32_e32 v1, 0
	s_mov_b32 s2, exec_lo
	s_delay_alu instid0(VALU_DEP_1) | instskip(NEXT) | instid1(VALU_DEP_1)
	v_mov_b32_e32 v7, v1
	v_cmpx_gt_u64_e64 s[4:5], v[6:7]
	s_cbranch_execz .LBB3_6
; %bb.1:
	v_lshl_add_u64 v[2:3], v[6:7], 3, s[6:7]
	s_load_b128 s[0:3], s[0:1], 0x20
	v_and_b32_e32 v0, 0x3ff, v0
	s_mov_b32 s4, exec_lo
	global_load_b128 v[2:5], v[2:3], off
	s_wait_loadcnt 0x0
	v_add_nc_u64_e32 v[2:3], v[2:3], v[0:1]
	s_delay_alu instid0(VALU_DEP_1)
	v_cmpx_lt_u64_e64 v[2:3], v[4:5]
	s_cbranch_execz .LBB3_5
; %bb.2:
	v_lshl_add_u64 v[8:9], v[2:3], 3, s[8:9]
	v_lshl_add_u64 v[10:11], v[2:3], 2, s[10:11]
	v_mov_b32_e32 v1, 0
	s_mov_b32 s5, 0
.LBB3_3:                                ; =>This Inner Loop Header: Depth=1
	global_load_b64 v[12:13], v[8:9], off
	v_add_nc_u64_e32 v[2:3], 4, v[2:3]
	s_wait_xcnt 0x0
	v_add_nc_u64_e32 v[8:9], 32, v[8:9]
	s_delay_alu instid0(VALU_DEP_2)
	v_cmp_ge_u64_e32 vcc_lo, v[2:3], v[4:5]
	s_or_b32 s5, vcc_lo, s5
	s_wait_loadcnt 0x0
	s_wait_kmcnt 0x0
	v_lshl_add_u64 v[12:13], v[12:13], 2, s[0:1]
	global_load_b32 v0, v[10:11], off
	global_load_b32 v14, v[12:13], off
	s_wait_xcnt 0x1
	v_add_nc_u64_e32 v[10:11], 16, v[10:11]
	s_wait_loadcnt 0x0
	v_fmac_f32_e32 v1, v0, v14
	s_and_not1_b32 exec_lo, exec_lo, s5
	s_cbranch_execnz .LBB3_3
; %bb.4:
	s_or_b32 exec_lo, exec_lo, s5
.LBB3_5:
	s_delay_alu instid0(SALU_CYCLE_1) | instskip(SKIP_1) | instid1(VALU_DEP_1)
	s_or_b32 exec_lo, exec_lo, s4
	v_mbcnt_lo_u32_b32 v0, -1, 0
	v_lshl_or_b32 v2, v0, 2, 8
	v_and_b32_e32 v3, 3, v0
	ds_bpermute_b32 v2, v2, v1
	v_cmp_ne_u32_e32 vcc_lo, 3, v3
	v_add_co_ci_u32_e64 v0, null, 0, v0, vcc_lo
	s_wait_dscnt 0x0
	s_delay_alu instid0(VALU_DEP_1)
	v_dual_add_f32 v1, v1, v2 :: v_dual_lshlrev_b32 v0, 2, v0
	ds_bpermute_b32 v0, v0, v1
	s_wait_dscnt 0x0
	v_add_f32_e32 v2, v1, v0
	s_wait_kmcnt 0x0
	v_lshl_add_u64 v[0:1], v[6:7], 2, s[2:3]
	global_store_b32 v[0:1], v2, off
.LBB3_6:
	s_endpgm
	.section	.rodata,"a",@progbits
	.p2align	6, 0x0
	.amdhsa_kernel _Z13vector_mv_csrILi4EEvmPKmS1_PKfS3_Pf
		.amdhsa_group_segment_fixed_size 0
		.amdhsa_private_segment_fixed_size 0
		.amdhsa_kernarg_size 304
		.amdhsa_user_sgpr_count 2
		.amdhsa_user_sgpr_dispatch_ptr 0
		.amdhsa_user_sgpr_queue_ptr 0
		.amdhsa_user_sgpr_kernarg_segment_ptr 1
		.amdhsa_user_sgpr_dispatch_id 0
		.amdhsa_user_sgpr_kernarg_preload_length 0
		.amdhsa_user_sgpr_kernarg_preload_offset 0
		.amdhsa_user_sgpr_private_segment_size 0
		.amdhsa_wavefront_size32 1
		.amdhsa_uses_dynamic_stack 0
		.amdhsa_enable_private_segment 0
		.amdhsa_system_sgpr_workgroup_id_x 1
		.amdhsa_system_sgpr_workgroup_id_y 0
		.amdhsa_system_sgpr_workgroup_id_z 0
		.amdhsa_system_sgpr_workgroup_info 0
		.amdhsa_system_vgpr_workitem_id 1
		.amdhsa_next_free_vgpr 15
		.amdhsa_next_free_sgpr 13
		.amdhsa_named_barrier_count 0
		.amdhsa_reserve_vcc 1
		.amdhsa_float_round_mode_32 0
		.amdhsa_float_round_mode_16_64 0
		.amdhsa_float_denorm_mode_32 3
		.amdhsa_float_denorm_mode_16_64 3
		.amdhsa_fp16_overflow 0
		.amdhsa_memory_ordered 1
		.amdhsa_forward_progress 1
		.amdhsa_inst_pref_size 4
		.amdhsa_round_robin_scheduling 0
		.amdhsa_exception_fp_ieee_invalid_op 0
		.amdhsa_exception_fp_denorm_src 0
		.amdhsa_exception_fp_ieee_div_zero 0
		.amdhsa_exception_fp_ieee_overflow 0
		.amdhsa_exception_fp_ieee_underflow 0
		.amdhsa_exception_fp_ieee_inexact 0
		.amdhsa_exception_int_div_zero 0
	.end_amdhsa_kernel
	.section	.text._Z13vector_mv_csrILi4EEvmPKmS1_PKfS3_Pf,"axG",@progbits,_Z13vector_mv_csrILi4EEvmPKmS1_PKfS3_Pf,comdat
.Lfunc_end3:
	.size	_Z13vector_mv_csrILi4EEvmPKmS1_PKfS3_Pf, .Lfunc_end3-_Z13vector_mv_csrILi4EEvmPKmS1_PKfS3_Pf
                                        ; -- End function
	.set _Z13vector_mv_csrILi4EEvmPKmS1_PKfS3_Pf.num_vgpr, 15
	.set _Z13vector_mv_csrILi4EEvmPKmS1_PKfS3_Pf.num_agpr, 0
	.set _Z13vector_mv_csrILi4EEvmPKmS1_PKfS3_Pf.numbered_sgpr, 13
	.set _Z13vector_mv_csrILi4EEvmPKmS1_PKfS3_Pf.num_named_barrier, 0
	.set _Z13vector_mv_csrILi4EEvmPKmS1_PKfS3_Pf.private_seg_size, 0
	.set _Z13vector_mv_csrILi4EEvmPKmS1_PKfS3_Pf.uses_vcc, 1
	.set _Z13vector_mv_csrILi4EEvmPKmS1_PKfS3_Pf.uses_flat_scratch, 0
	.set _Z13vector_mv_csrILi4EEvmPKmS1_PKfS3_Pf.has_dyn_sized_stack, 0
	.set _Z13vector_mv_csrILi4EEvmPKmS1_PKfS3_Pf.has_recursion, 0
	.set _Z13vector_mv_csrILi4EEvmPKmS1_PKfS3_Pf.has_indirect_call, 0
	.section	.AMDGPU.csdata,"",@progbits
; Kernel info:
; codeLenInByte = 404
; TotalNumSgprs: 15
; NumVgprs: 15
; ScratchSize: 0
; MemoryBound: 0
; FloatMode: 240
; IeeeMode: 1
; LDSByteSize: 0 bytes/workgroup (compile time only)
; SGPRBlocks: 0
; VGPRBlocks: 0
; NumSGPRsForWavesPerEU: 15
; NumVGPRsForWavesPerEU: 15
; NamedBarCnt: 0
; Occupancy: 16
; WaveLimiterHint : 1
; COMPUTE_PGM_RSRC2:SCRATCH_EN: 0
; COMPUTE_PGM_RSRC2:USER_SGPR: 2
; COMPUTE_PGM_RSRC2:TRAP_HANDLER: 0
; COMPUTE_PGM_RSRC2:TGID_X_EN: 1
; COMPUTE_PGM_RSRC2:TGID_Y_EN: 0
; COMPUTE_PGM_RSRC2:TGID_Z_EN: 0
; COMPUTE_PGM_RSRC2:TIDIG_COMP_CNT: 1
	.section	.text._Z13vector_mv_csrILi8EEvmPKmS1_PKfS3_Pf,"axG",@progbits,_Z13vector_mv_csrILi8EEvmPKmS1_PKfS3_Pf,comdat
	.protected	_Z13vector_mv_csrILi8EEvmPKmS1_PKfS3_Pf ; -- Begin function _Z13vector_mv_csrILi8EEvmPKmS1_PKfS3_Pf
	.globl	_Z13vector_mv_csrILi8EEvmPKmS1_PKfS3_Pf
	.p2align	8
	.type	_Z13vector_mv_csrILi8EEvmPKmS1_PKfS3_Pf,@function
_Z13vector_mv_csrILi8EEvmPKmS1_PKfS3_Pf: ; @_Z13vector_mv_csrILi8EEvmPKmS1_PKfS3_Pf
; %bb.0:
	s_load_u16 s2, s[0:1], 0x3e
	s_bfe_u32 s3, ttmp6, 0x4000c
	s_load_b256 s[4:11], s[0:1], 0x0
	s_add_co_i32 s3, s3, 1
	s_and_b32 s12, ttmp6, 15
	s_mul_i32 s3, ttmp9, s3
	v_bfe_u32 v1, v0, 10, 10
	s_add_co_i32 s12, s12, s3
	s_getreg_b32 s3, hwreg(HW_REG_IB_STS2, 6, 4)
	s_delay_alu instid0(SALU_CYCLE_1)
	s_cmp_eq_u32 s3, 0
	s_cselect_b32 s3, ttmp9, s12
	s_wait_kmcnt 0x0
	v_mad_u32 v6, s3, s2, v1
	v_mov_b32_e32 v1, 0
	s_mov_b32 s2, exec_lo
	s_delay_alu instid0(VALU_DEP_1) | instskip(NEXT) | instid1(VALU_DEP_1)
	v_mov_b32_e32 v7, v1
	v_cmpx_gt_u64_e64 s[4:5], v[6:7]
	s_cbranch_execz .LBB4_6
; %bb.1:
	v_lshl_add_u64 v[2:3], v[6:7], 3, s[6:7]
	s_load_b128 s[0:3], s[0:1], 0x20
	v_and_b32_e32 v0, 0x3ff, v0
	s_mov_b32 s4, exec_lo
	global_load_b128 v[2:5], v[2:3], off
	s_wait_loadcnt 0x0
	v_add_nc_u64_e32 v[2:3], v[2:3], v[0:1]
	s_delay_alu instid0(VALU_DEP_1)
	v_cmpx_lt_u64_e64 v[2:3], v[4:5]
	s_cbranch_execz .LBB4_5
; %bb.2:
	v_lshl_add_u64 v[8:9], v[2:3], 3, s[8:9]
	v_lshl_add_u64 v[10:11], v[2:3], 2, s[10:11]
	v_mov_b32_e32 v1, 0
	s_mov_b32 s5, 0
.LBB4_3:                                ; =>This Inner Loop Header: Depth=1
	global_load_b64 v[12:13], v[8:9], off
	v_add_nc_u64_e32 v[2:3], 8, v[2:3]
	s_wait_xcnt 0x0
	v_add_nc_u64_e32 v[8:9], 64, v[8:9]
	s_delay_alu instid0(VALU_DEP_2)
	v_cmp_ge_u64_e32 vcc_lo, v[2:3], v[4:5]
	s_or_b32 s5, vcc_lo, s5
	s_wait_loadcnt 0x0
	s_wait_kmcnt 0x0
	v_lshl_add_u64 v[12:13], v[12:13], 2, s[0:1]
	global_load_b32 v0, v[10:11], off
	global_load_b32 v14, v[12:13], off
	s_wait_xcnt 0x1
	v_add_nc_u64_e32 v[10:11], 32, v[10:11]
	s_wait_loadcnt 0x0
	v_fmac_f32_e32 v1, v0, v14
	s_and_not1_b32 exec_lo, exec_lo, s5
	s_cbranch_execnz .LBB4_3
; %bb.4:
	s_or_b32 exec_lo, exec_lo, s5
.LBB4_5:
	s_delay_alu instid0(SALU_CYCLE_1) | instskip(SKIP_1) | instid1(VALU_DEP_1)
	s_or_b32 exec_lo, exec_lo, s4
	v_mbcnt_lo_u32_b32 v0, -1, 0
	v_lshl_or_b32 v2, v0, 2, 16
	ds_bpermute_b32 v2, v2, v1
	s_wait_dscnt 0x0
	v_dual_add_f32 v1, v1, v2 :: v_dual_bitop2_b32 v3, 7, v0 bitop3:0x40
	s_delay_alu instid0(VALU_DEP_1) | instskip(SKIP_2) | instid1(VALU_DEP_2)
	v_cmp_gt_u32_e32 vcc_lo, 6, v3
	v_cndmask_b32_e64 v4, 0, 2, vcc_lo
	v_cmp_ne_u32_e32 vcc_lo, 7, v3
	v_add_lshl_u32 v4, v4, v0, 2
	v_add_co_ci_u32_e64 v0, null, 0, v0, vcc_lo
	ds_bpermute_b32 v2, v4, v1
	s_wait_dscnt 0x0
	v_dual_add_f32 v1, v1, v2 :: v_dual_lshlrev_b32 v0, 2, v0
	ds_bpermute_b32 v0, v0, v1
	s_wait_dscnt 0x0
	v_add_f32_e32 v2, v1, v0
	s_wait_kmcnt 0x0
	v_lshl_add_u64 v[0:1], v[6:7], 2, s[2:3]
	global_store_b32 v[0:1], v2, off
.LBB4_6:
	s_endpgm
	.section	.rodata,"a",@progbits
	.p2align	6, 0x0
	.amdhsa_kernel _Z13vector_mv_csrILi8EEvmPKmS1_PKfS3_Pf
		.amdhsa_group_segment_fixed_size 0
		.amdhsa_private_segment_fixed_size 0
		.amdhsa_kernarg_size 304
		.amdhsa_user_sgpr_count 2
		.amdhsa_user_sgpr_dispatch_ptr 0
		.amdhsa_user_sgpr_queue_ptr 0
		.amdhsa_user_sgpr_kernarg_segment_ptr 1
		.amdhsa_user_sgpr_dispatch_id 0
		.amdhsa_user_sgpr_kernarg_preload_length 0
		.amdhsa_user_sgpr_kernarg_preload_offset 0
		.amdhsa_user_sgpr_private_segment_size 0
		.amdhsa_wavefront_size32 1
		.amdhsa_uses_dynamic_stack 0
		.amdhsa_enable_private_segment 0
		.amdhsa_system_sgpr_workgroup_id_x 1
		.amdhsa_system_sgpr_workgroup_id_y 0
		.amdhsa_system_sgpr_workgroup_id_z 0
		.amdhsa_system_sgpr_workgroup_info 0
		.amdhsa_system_vgpr_workitem_id 1
		.amdhsa_next_free_vgpr 15
		.amdhsa_next_free_sgpr 13
		.amdhsa_named_barrier_count 0
		.amdhsa_reserve_vcc 1
		.amdhsa_float_round_mode_32 0
		.amdhsa_float_round_mode_16_64 0
		.amdhsa_float_denorm_mode_32 3
		.amdhsa_float_denorm_mode_16_64 3
		.amdhsa_fp16_overflow 0
		.amdhsa_memory_ordered 1
		.amdhsa_forward_progress 1
		.amdhsa_inst_pref_size 4
		.amdhsa_round_robin_scheduling 0
		.amdhsa_exception_fp_ieee_invalid_op 0
		.amdhsa_exception_fp_denorm_src 0
		.amdhsa_exception_fp_ieee_div_zero 0
		.amdhsa_exception_fp_ieee_overflow 0
		.amdhsa_exception_fp_ieee_underflow 0
		.amdhsa_exception_fp_ieee_inexact 0
		.amdhsa_exception_int_div_zero 0
	.end_amdhsa_kernel
	.section	.text._Z13vector_mv_csrILi8EEvmPKmS1_PKfS3_Pf,"axG",@progbits,_Z13vector_mv_csrILi8EEvmPKmS1_PKfS3_Pf,comdat
.Lfunc_end4:
	.size	_Z13vector_mv_csrILi8EEvmPKmS1_PKfS3_Pf, .Lfunc_end4-_Z13vector_mv_csrILi8EEvmPKmS1_PKfS3_Pf
                                        ; -- End function
	.set _Z13vector_mv_csrILi8EEvmPKmS1_PKfS3_Pf.num_vgpr, 15
	.set _Z13vector_mv_csrILi8EEvmPKmS1_PKfS3_Pf.num_agpr, 0
	.set _Z13vector_mv_csrILi8EEvmPKmS1_PKfS3_Pf.numbered_sgpr, 13
	.set _Z13vector_mv_csrILi8EEvmPKmS1_PKfS3_Pf.num_named_barrier, 0
	.set _Z13vector_mv_csrILi8EEvmPKmS1_PKfS3_Pf.private_seg_size, 0
	.set _Z13vector_mv_csrILi8EEvmPKmS1_PKfS3_Pf.uses_vcc, 1
	.set _Z13vector_mv_csrILi8EEvmPKmS1_PKfS3_Pf.uses_flat_scratch, 0
	.set _Z13vector_mv_csrILi8EEvmPKmS1_PKfS3_Pf.has_dyn_sized_stack, 0
	.set _Z13vector_mv_csrILi8EEvmPKmS1_PKfS3_Pf.has_recursion, 0
	.set _Z13vector_mv_csrILi8EEvmPKmS1_PKfS3_Pf.has_indirect_call, 0
	.section	.AMDGPU.csdata,"",@progbits
; Kernel info:
; codeLenInByte = 444
; TotalNumSgprs: 15
; NumVgprs: 15
; ScratchSize: 0
; MemoryBound: 0
; FloatMode: 240
; IeeeMode: 1
; LDSByteSize: 0 bytes/workgroup (compile time only)
; SGPRBlocks: 0
; VGPRBlocks: 0
; NumSGPRsForWavesPerEU: 15
; NumVGPRsForWavesPerEU: 15
; NamedBarCnt: 0
; Occupancy: 16
; WaveLimiterHint : 1
; COMPUTE_PGM_RSRC2:SCRATCH_EN: 0
; COMPUTE_PGM_RSRC2:USER_SGPR: 2
; COMPUTE_PGM_RSRC2:TRAP_HANDLER: 0
; COMPUTE_PGM_RSRC2:TGID_X_EN: 1
; COMPUTE_PGM_RSRC2:TGID_Y_EN: 0
; COMPUTE_PGM_RSRC2:TGID_Z_EN: 0
; COMPUTE_PGM_RSRC2:TIDIG_COMP_CNT: 1
	.section	.text._Z13vector_mv_csrILi16EEvmPKmS1_PKfS3_Pf,"axG",@progbits,_Z13vector_mv_csrILi16EEvmPKmS1_PKfS3_Pf,comdat
	.protected	_Z13vector_mv_csrILi16EEvmPKmS1_PKfS3_Pf ; -- Begin function _Z13vector_mv_csrILi16EEvmPKmS1_PKfS3_Pf
	.globl	_Z13vector_mv_csrILi16EEvmPKmS1_PKfS3_Pf
	.p2align	8
	.type	_Z13vector_mv_csrILi16EEvmPKmS1_PKfS3_Pf,@function
_Z13vector_mv_csrILi16EEvmPKmS1_PKfS3_Pf: ; @_Z13vector_mv_csrILi16EEvmPKmS1_PKfS3_Pf
; %bb.0:
	s_load_u16 s2, s[0:1], 0x3e
	s_bfe_u32 s3, ttmp6, 0x4000c
	s_load_b256 s[4:11], s[0:1], 0x0
	s_add_co_i32 s3, s3, 1
	s_and_b32 s12, ttmp6, 15
	s_mul_i32 s3, ttmp9, s3
	v_bfe_u32 v1, v0, 10, 10
	s_add_co_i32 s12, s12, s3
	s_getreg_b32 s3, hwreg(HW_REG_IB_STS2, 6, 4)
	s_delay_alu instid0(SALU_CYCLE_1)
	s_cmp_eq_u32 s3, 0
	s_cselect_b32 s3, ttmp9, s12
	s_wait_kmcnt 0x0
	v_mad_u32 v6, s3, s2, v1
	v_mov_b32_e32 v1, 0
	s_mov_b32 s2, exec_lo
	s_delay_alu instid0(VALU_DEP_1) | instskip(NEXT) | instid1(VALU_DEP_1)
	v_mov_b32_e32 v7, v1
	v_cmpx_gt_u64_e64 s[4:5], v[6:7]
	s_cbranch_execz .LBB5_6
; %bb.1:
	v_lshl_add_u64 v[2:3], v[6:7], 3, s[6:7]
	s_load_b128 s[0:3], s[0:1], 0x20
	v_and_b32_e32 v0, 0x3ff, v0
	s_mov_b32 s4, exec_lo
	global_load_b128 v[2:5], v[2:3], off
	s_wait_loadcnt 0x0
	v_add_nc_u64_e32 v[2:3], v[2:3], v[0:1]
	s_delay_alu instid0(VALU_DEP_1)
	v_cmpx_lt_u64_e64 v[2:3], v[4:5]
	s_cbranch_execz .LBB5_5
; %bb.2:
	v_lshl_add_u64 v[8:9], v[2:3], 3, s[8:9]
	v_lshl_add_u64 v[10:11], v[2:3], 2, s[10:11]
	v_mov_b32_e32 v1, 0
	s_mov_b32 s5, 0
.LBB5_3:                                ; =>This Inner Loop Header: Depth=1
	global_load_b64 v[12:13], v[8:9], off
	v_add_nc_u64_e32 v[2:3], 16, v[2:3]
	s_wait_xcnt 0x0
	v_add_nc_u64_e32 v[8:9], 0x80, v[8:9]
	s_delay_alu instid0(VALU_DEP_2)
	v_cmp_ge_u64_e32 vcc_lo, v[2:3], v[4:5]
	s_or_b32 s5, vcc_lo, s5
	s_wait_loadcnt 0x0
	s_wait_kmcnt 0x0
	v_lshl_add_u64 v[12:13], v[12:13], 2, s[0:1]
	global_load_b32 v0, v[10:11], off
	global_load_b32 v14, v[12:13], off
	s_wait_xcnt 0x1
	v_add_nc_u64_e32 v[10:11], 64, v[10:11]
	s_wait_loadcnt 0x0
	v_fmac_f32_e32 v1, v0, v14
	s_and_not1_b32 exec_lo, exec_lo, s5
	s_cbranch_execnz .LBB5_3
; %bb.4:
	s_or_b32 exec_lo, exec_lo, s5
.LBB5_5:
	s_delay_alu instid0(SALU_CYCLE_1) | instskip(SKIP_1) | instid1(VALU_DEP_1)
	s_or_b32 exec_lo, exec_lo, s4
	v_mbcnt_lo_u32_b32 v0, -1, 0
	v_lshl_or_b32 v2, v0, 2, 32
	ds_bpermute_b32 v2, v2, v1
	s_wait_dscnt 0x0
	v_dual_add_f32 v1, v1, v2 :: v_dual_bitop2_b32 v3, 15, v0 bitop3:0x40
	s_delay_alu instid0(VALU_DEP_1) | instskip(SKIP_2) | instid1(VALU_DEP_2)
	v_cmp_gt_u32_e32 vcc_lo, 12, v3
	v_cndmask_b32_e64 v4, 0, 4, vcc_lo
	v_cmp_gt_u32_e32 vcc_lo, 14, v3
	v_add_lshl_u32 v4, v4, v0, 2
	ds_bpermute_b32 v2, v4, v1
	v_cndmask_b32_e64 v4, 0, 2, vcc_lo
	v_cmp_ne_u32_e32 vcc_lo, 15, v3
	s_delay_alu instid0(VALU_DEP_2) | instskip(SKIP_2) | instid1(VALU_DEP_1)
	v_add_lshl_u32 v4, v4, v0, 2
	v_add_co_ci_u32_e64 v0, null, 0, v0, vcc_lo
	s_wait_dscnt 0x0
	v_dual_add_f32 v1, v1, v2 :: v_dual_lshlrev_b32 v0, 2, v0
	ds_bpermute_b32 v2, v4, v1
	s_wait_dscnt 0x0
	v_add_f32_e32 v1, v1, v2
	ds_bpermute_b32 v0, v0, v1
	s_wait_dscnt 0x0
	v_add_f32_e32 v2, v1, v0
	s_wait_kmcnt 0x0
	v_lshl_add_u64 v[0:1], v[6:7], 2, s[2:3]
	global_store_b32 v[0:1], v2, off
.LBB5_6:
	s_endpgm
	.section	.rodata,"a",@progbits
	.p2align	6, 0x0
	.amdhsa_kernel _Z13vector_mv_csrILi16EEvmPKmS1_PKfS3_Pf
		.amdhsa_group_segment_fixed_size 0
		.amdhsa_private_segment_fixed_size 0
		.amdhsa_kernarg_size 304
		.amdhsa_user_sgpr_count 2
		.amdhsa_user_sgpr_dispatch_ptr 0
		.amdhsa_user_sgpr_queue_ptr 0
		.amdhsa_user_sgpr_kernarg_segment_ptr 1
		.amdhsa_user_sgpr_dispatch_id 0
		.amdhsa_user_sgpr_kernarg_preload_length 0
		.amdhsa_user_sgpr_kernarg_preload_offset 0
		.amdhsa_user_sgpr_private_segment_size 0
		.amdhsa_wavefront_size32 1
		.amdhsa_uses_dynamic_stack 0
		.amdhsa_enable_private_segment 0
		.amdhsa_system_sgpr_workgroup_id_x 1
		.amdhsa_system_sgpr_workgroup_id_y 0
		.amdhsa_system_sgpr_workgroup_id_z 0
		.amdhsa_system_sgpr_workgroup_info 0
		.amdhsa_system_vgpr_workitem_id 1
		.amdhsa_next_free_vgpr 15
		.amdhsa_next_free_sgpr 13
		.amdhsa_named_barrier_count 0
		.amdhsa_reserve_vcc 1
		.amdhsa_float_round_mode_32 0
		.amdhsa_float_round_mode_16_64 0
		.amdhsa_float_denorm_mode_32 3
		.amdhsa_float_denorm_mode_16_64 3
		.amdhsa_fp16_overflow 0
		.amdhsa_memory_ordered 1
		.amdhsa_forward_progress 1
		.amdhsa_inst_pref_size 4
		.amdhsa_round_robin_scheduling 0
		.amdhsa_exception_fp_ieee_invalid_op 0
		.amdhsa_exception_fp_denorm_src 0
		.amdhsa_exception_fp_ieee_div_zero 0
		.amdhsa_exception_fp_ieee_overflow 0
		.amdhsa_exception_fp_ieee_underflow 0
		.amdhsa_exception_fp_ieee_inexact 0
		.amdhsa_exception_int_div_zero 0
	.end_amdhsa_kernel
	.section	.text._Z13vector_mv_csrILi16EEvmPKmS1_PKfS3_Pf,"axG",@progbits,_Z13vector_mv_csrILi16EEvmPKmS1_PKfS3_Pf,comdat
.Lfunc_end5:
	.size	_Z13vector_mv_csrILi16EEvmPKmS1_PKfS3_Pf, .Lfunc_end5-_Z13vector_mv_csrILi16EEvmPKmS1_PKfS3_Pf
                                        ; -- End function
	.set _Z13vector_mv_csrILi16EEvmPKmS1_PKfS3_Pf.num_vgpr, 15
	.set _Z13vector_mv_csrILi16EEvmPKmS1_PKfS3_Pf.num_agpr, 0
	.set _Z13vector_mv_csrILi16EEvmPKmS1_PKfS3_Pf.numbered_sgpr, 13
	.set _Z13vector_mv_csrILi16EEvmPKmS1_PKfS3_Pf.num_named_barrier, 0
	.set _Z13vector_mv_csrILi16EEvmPKmS1_PKfS3_Pf.private_seg_size, 0
	.set _Z13vector_mv_csrILi16EEvmPKmS1_PKfS3_Pf.uses_vcc, 1
	.set _Z13vector_mv_csrILi16EEvmPKmS1_PKfS3_Pf.uses_flat_scratch, 0
	.set _Z13vector_mv_csrILi16EEvmPKmS1_PKfS3_Pf.has_dyn_sized_stack, 0
	.set _Z13vector_mv_csrILi16EEvmPKmS1_PKfS3_Pf.has_recursion, 0
	.set _Z13vector_mv_csrILi16EEvmPKmS1_PKfS3_Pf.has_indirect_call, 0
	.section	.AMDGPU.csdata,"",@progbits
; Kernel info:
; codeLenInByte = 488
; TotalNumSgprs: 15
; NumVgprs: 15
; ScratchSize: 0
; MemoryBound: 0
; FloatMode: 240
; IeeeMode: 1
; LDSByteSize: 0 bytes/workgroup (compile time only)
; SGPRBlocks: 0
; VGPRBlocks: 0
; NumSGPRsForWavesPerEU: 15
; NumVGPRsForWavesPerEU: 15
; NamedBarCnt: 0
; Occupancy: 16
; WaveLimiterHint : 1
; COMPUTE_PGM_RSRC2:SCRATCH_EN: 0
; COMPUTE_PGM_RSRC2:USER_SGPR: 2
; COMPUTE_PGM_RSRC2:TRAP_HANDLER: 0
; COMPUTE_PGM_RSRC2:TGID_X_EN: 1
; COMPUTE_PGM_RSRC2:TGID_Y_EN: 0
; COMPUTE_PGM_RSRC2:TGID_Z_EN: 0
; COMPUTE_PGM_RSRC2:TIDIG_COMP_CNT: 1
	.section	.text._Z13vector_mv_csrILi32EEvmPKmS1_PKfS3_Pf,"axG",@progbits,_Z13vector_mv_csrILi32EEvmPKmS1_PKfS3_Pf,comdat
	.protected	_Z13vector_mv_csrILi32EEvmPKmS1_PKfS3_Pf ; -- Begin function _Z13vector_mv_csrILi32EEvmPKmS1_PKfS3_Pf
	.globl	_Z13vector_mv_csrILi32EEvmPKmS1_PKfS3_Pf
	.p2align	8
	.type	_Z13vector_mv_csrILi32EEvmPKmS1_PKfS3_Pf,@function
_Z13vector_mv_csrILi32EEvmPKmS1_PKfS3_Pf: ; @_Z13vector_mv_csrILi32EEvmPKmS1_PKfS3_Pf
; %bb.0:
	s_load_u16 s2, s[0:1], 0x3e
	s_bfe_u32 s3, ttmp6, 0x4000c
	s_load_b256 s[4:11], s[0:1], 0x0
	s_add_co_i32 s3, s3, 1
	s_and_b32 s12, ttmp6, 15
	s_mul_i32 s3, ttmp9, s3
	v_bfe_u32 v1, v0, 10, 10
	s_add_co_i32 s12, s12, s3
	s_getreg_b32 s3, hwreg(HW_REG_IB_STS2, 6, 4)
	s_delay_alu instid0(SALU_CYCLE_1)
	s_cmp_eq_u32 s3, 0
	s_cselect_b32 s3, ttmp9, s12
	s_wait_kmcnt 0x0
	v_mad_u32 v6, s3, s2, v1
	v_mov_b32_e32 v1, 0
	s_mov_b32 s2, exec_lo
	s_delay_alu instid0(VALU_DEP_1) | instskip(NEXT) | instid1(VALU_DEP_1)
	v_mov_b32_e32 v7, v1
	v_cmpx_gt_u64_e64 s[4:5], v[6:7]
	s_cbranch_execz .LBB6_6
; %bb.1:
	v_lshl_add_u64 v[2:3], v[6:7], 3, s[6:7]
	s_load_b128 s[0:3], s[0:1], 0x20
	v_and_b32_e32 v0, 0x3ff, v0
	s_mov_b32 s4, exec_lo
	global_load_b128 v[2:5], v[2:3], off
	s_wait_loadcnt 0x0
	v_add_nc_u64_e32 v[2:3], v[2:3], v[0:1]
	s_delay_alu instid0(VALU_DEP_1)
	v_cmpx_lt_u64_e64 v[2:3], v[4:5]
	s_cbranch_execz .LBB6_5
; %bb.2:
	v_lshl_add_u64 v[8:9], v[2:3], 3, s[8:9]
	v_lshl_add_u64 v[10:11], v[2:3], 2, s[10:11]
	v_mov_b32_e32 v1, 0
	s_mov_b32 s5, 0
.LBB6_3:                                ; =>This Inner Loop Header: Depth=1
	global_load_b64 v[12:13], v[8:9], off
	v_add_nc_u64_e32 v[2:3], 32, v[2:3]
	s_wait_xcnt 0x0
	v_add_nc_u64_e32 v[8:9], 0x100, v[8:9]
	s_delay_alu instid0(VALU_DEP_2)
	v_cmp_ge_u64_e32 vcc_lo, v[2:3], v[4:5]
	s_or_b32 s5, vcc_lo, s5
	s_wait_loadcnt 0x0
	s_wait_kmcnt 0x0
	v_lshl_add_u64 v[12:13], v[12:13], 2, s[0:1]
	global_load_b32 v0, v[10:11], off
	global_load_b32 v14, v[12:13], off
	s_wait_xcnt 0x1
	v_add_nc_u64_e32 v[10:11], 0x80, v[10:11]
	s_wait_loadcnt 0x0
	v_fmac_f32_e32 v1, v0, v14
	s_and_not1_b32 exec_lo, exec_lo, s5
	s_cbranch_execnz .LBB6_3
; %bb.4:
	s_or_b32 exec_lo, exec_lo, s5
.LBB6_5:
	s_delay_alu instid0(SALU_CYCLE_1) | instskip(SKIP_1) | instid1(VALU_DEP_1)
	s_or_b32 exec_lo, exec_lo, s4
	v_mbcnt_lo_u32_b32 v0, -1, 0
	v_lshl_or_b32 v2, v0, 2, 64
	v_cmp_gt_u32_e32 vcc_lo, 24, v0
	ds_bpermute_b32 v2, v2, v1
	v_cndmask_b32_e64 v3, 0, 8, vcc_lo
	v_cmp_gt_u32_e32 vcc_lo, 28, v0
	s_delay_alu instid0(VALU_DEP_2)
	v_add_lshl_u32 v3, v3, v0, 2
	s_wait_dscnt 0x0
	v_add_f32_e32 v1, v1, v2
	ds_bpermute_b32 v2, v3, v1
	v_cndmask_b32_e64 v3, 0, 4, vcc_lo
	v_cmp_gt_u32_e32 vcc_lo, 30, v0
	s_delay_alu instid0(VALU_DEP_2)
	v_add_lshl_u32 v3, v3, v0, 2
	s_wait_dscnt 0x0
	v_add_f32_e32 v1, v1, v2
	ds_bpermute_b32 v2, v3, v1
	v_cndmask_b32_e64 v3, 0, 2, vcc_lo
	v_cmp_ne_u32_e32 vcc_lo, 31, v0
	s_delay_alu instid0(VALU_DEP_2) | instskip(SKIP_2) | instid1(VALU_DEP_1)
	v_add_lshl_u32 v3, v3, v0, 2
	v_add_co_ci_u32_e64 v0, null, 0, v0, vcc_lo
	s_wait_dscnt 0x0
	v_dual_add_f32 v1, v1, v2 :: v_dual_lshlrev_b32 v0, 2, v0
	ds_bpermute_b32 v2, v3, v1
	s_wait_dscnt 0x0
	v_add_f32_e32 v1, v1, v2
	ds_bpermute_b32 v0, v0, v1
	s_wait_dscnt 0x0
	v_add_f32_e32 v2, v1, v0
	s_wait_kmcnt 0x0
	v_lshl_add_u64 v[0:1], v[6:7], 2, s[2:3]
	global_store_b32 v[0:1], v2, off
.LBB6_6:
	s_endpgm
	.section	.rodata,"a",@progbits
	.p2align	6, 0x0
	.amdhsa_kernel _Z13vector_mv_csrILi32EEvmPKmS1_PKfS3_Pf
		.amdhsa_group_segment_fixed_size 0
		.amdhsa_private_segment_fixed_size 0
		.amdhsa_kernarg_size 304
		.amdhsa_user_sgpr_count 2
		.amdhsa_user_sgpr_dispatch_ptr 0
		.amdhsa_user_sgpr_queue_ptr 0
		.amdhsa_user_sgpr_kernarg_segment_ptr 1
		.amdhsa_user_sgpr_dispatch_id 0
		.amdhsa_user_sgpr_kernarg_preload_length 0
		.amdhsa_user_sgpr_kernarg_preload_offset 0
		.amdhsa_user_sgpr_private_segment_size 0
		.amdhsa_wavefront_size32 1
		.amdhsa_uses_dynamic_stack 0
		.amdhsa_enable_private_segment 0
		.amdhsa_system_sgpr_workgroup_id_x 1
		.amdhsa_system_sgpr_workgroup_id_y 0
		.amdhsa_system_sgpr_workgroup_id_z 0
		.amdhsa_system_sgpr_workgroup_info 0
		.amdhsa_system_vgpr_workitem_id 1
		.amdhsa_next_free_vgpr 15
		.amdhsa_next_free_sgpr 13
		.amdhsa_named_barrier_count 0
		.amdhsa_reserve_vcc 1
		.amdhsa_float_round_mode_32 0
		.amdhsa_float_round_mode_16_64 0
		.amdhsa_float_denorm_mode_32 3
		.amdhsa_float_denorm_mode_16_64 3
		.amdhsa_fp16_overflow 0
		.amdhsa_memory_ordered 1
		.amdhsa_forward_progress 1
		.amdhsa_inst_pref_size 5
		.amdhsa_round_robin_scheduling 0
		.amdhsa_exception_fp_ieee_invalid_op 0
		.amdhsa_exception_fp_denorm_src 0
		.amdhsa_exception_fp_ieee_div_zero 0
		.amdhsa_exception_fp_ieee_overflow 0
		.amdhsa_exception_fp_ieee_underflow 0
		.amdhsa_exception_fp_ieee_inexact 0
		.amdhsa_exception_int_div_zero 0
	.end_amdhsa_kernel
	.section	.text._Z13vector_mv_csrILi32EEvmPKmS1_PKfS3_Pf,"axG",@progbits,_Z13vector_mv_csrILi32EEvmPKmS1_PKfS3_Pf,comdat
.Lfunc_end6:
	.size	_Z13vector_mv_csrILi32EEvmPKmS1_PKfS3_Pf, .Lfunc_end6-_Z13vector_mv_csrILi32EEvmPKmS1_PKfS3_Pf
                                        ; -- End function
	.set _Z13vector_mv_csrILi32EEvmPKmS1_PKfS3_Pf.num_vgpr, 15
	.set _Z13vector_mv_csrILi32EEvmPKmS1_PKfS3_Pf.num_agpr, 0
	.set _Z13vector_mv_csrILi32EEvmPKmS1_PKfS3_Pf.numbered_sgpr, 13
	.set _Z13vector_mv_csrILi32EEvmPKmS1_PKfS3_Pf.num_named_barrier, 0
	.set _Z13vector_mv_csrILi32EEvmPKmS1_PKfS3_Pf.private_seg_size, 0
	.set _Z13vector_mv_csrILi32EEvmPKmS1_PKfS3_Pf.uses_vcc, 1
	.set _Z13vector_mv_csrILi32EEvmPKmS1_PKfS3_Pf.uses_flat_scratch, 0
	.set _Z13vector_mv_csrILi32EEvmPKmS1_PKfS3_Pf.has_dyn_sized_stack, 0
	.set _Z13vector_mv_csrILi32EEvmPKmS1_PKfS3_Pf.has_recursion, 0
	.set _Z13vector_mv_csrILi32EEvmPKmS1_PKfS3_Pf.has_indirect_call, 0
	.section	.AMDGPU.csdata,"",@progbits
; Kernel info:
; codeLenInByte = 524
; TotalNumSgprs: 15
; NumVgprs: 15
; ScratchSize: 0
; MemoryBound: 0
; FloatMode: 240
; IeeeMode: 1
; LDSByteSize: 0 bytes/workgroup (compile time only)
; SGPRBlocks: 0
; VGPRBlocks: 0
; NumSGPRsForWavesPerEU: 15
; NumVGPRsForWavesPerEU: 15
; NamedBarCnt: 0
; Occupancy: 16
; WaveLimiterHint : 1
; COMPUTE_PGM_RSRC2:SCRATCH_EN: 0
; COMPUTE_PGM_RSRC2:USER_SGPR: 2
; COMPUTE_PGM_RSRC2:TRAP_HANDLER: 0
; COMPUTE_PGM_RSRC2:TGID_X_EN: 1
; COMPUTE_PGM_RSRC2:TGID_Y_EN: 0
; COMPUTE_PGM_RSRC2:TGID_Z_EN: 0
; COMPUTE_PGM_RSRC2:TIDIG_COMP_CNT: 1
	.section	.text._Z13vector_mv_csrILi64EEvmPKmS1_PKfS3_Pf,"axG",@progbits,_Z13vector_mv_csrILi64EEvmPKmS1_PKfS3_Pf,comdat
	.protected	_Z13vector_mv_csrILi64EEvmPKmS1_PKfS3_Pf ; -- Begin function _Z13vector_mv_csrILi64EEvmPKmS1_PKfS3_Pf
	.globl	_Z13vector_mv_csrILi64EEvmPKmS1_PKfS3_Pf
	.p2align	8
	.type	_Z13vector_mv_csrILi64EEvmPKmS1_PKfS3_Pf,@function
_Z13vector_mv_csrILi64EEvmPKmS1_PKfS3_Pf: ; @_Z13vector_mv_csrILi64EEvmPKmS1_PKfS3_Pf
; %bb.0:
	s_load_u16 s2, s[0:1], 0x3e
	s_bfe_u32 s3, ttmp6, 0x4000c
	s_load_b256 s[4:11], s[0:1], 0x0
	s_add_co_i32 s3, s3, 1
	s_and_b32 s12, ttmp6, 15
	s_mul_i32 s3, ttmp9, s3
	v_bfe_u32 v1, v0, 10, 10
	s_add_co_i32 s12, s12, s3
	s_getreg_b32 s3, hwreg(HW_REG_IB_STS2, 6, 4)
	s_delay_alu instid0(SALU_CYCLE_1)
	s_cmp_eq_u32 s3, 0
	s_cselect_b32 s3, ttmp9, s12
	s_wait_kmcnt 0x0
	v_mad_u32 v6, s3, s2, v1
	v_mov_b32_e32 v1, 0
	s_mov_b32 s2, exec_lo
	s_delay_alu instid0(VALU_DEP_1) | instskip(NEXT) | instid1(VALU_DEP_1)
	v_mov_b32_e32 v7, v1
	v_cmpx_gt_u64_e64 s[4:5], v[6:7]
	s_cbranch_execz .LBB7_6
; %bb.1:
	v_lshl_add_u64 v[2:3], v[6:7], 3, s[6:7]
	s_load_b128 s[0:3], s[0:1], 0x20
	v_and_b32_e32 v0, 0x3ff, v0
	s_mov_b32 s4, exec_lo
	global_load_b128 v[2:5], v[2:3], off
	s_wait_loadcnt 0x0
	v_add_nc_u64_e32 v[2:3], v[2:3], v[0:1]
	s_delay_alu instid0(VALU_DEP_1)
	v_cmpx_lt_u64_e64 v[2:3], v[4:5]
	s_cbranch_execz .LBB7_5
; %bb.2:
	v_lshl_add_u64 v[8:9], v[2:3], 3, s[8:9]
	v_lshl_add_u64 v[10:11], v[2:3], 2, s[10:11]
	v_mov_b32_e32 v1, 0
	s_mov_b32 s5, 0
.LBB7_3:                                ; =>This Inner Loop Header: Depth=1
	global_load_b64 v[12:13], v[8:9], off
	v_add_nc_u64_e32 v[2:3], 64, v[2:3]
	s_wait_xcnt 0x0
	v_add_nc_u64_e32 v[8:9], 0x200, v[8:9]
	s_delay_alu instid0(VALU_DEP_2)
	v_cmp_ge_u64_e32 vcc_lo, v[2:3], v[4:5]
	s_or_b32 s5, vcc_lo, s5
	s_wait_loadcnt 0x0
	s_wait_kmcnt 0x0
	v_lshl_add_u64 v[12:13], v[12:13], 2, s[0:1]
	global_load_b32 v0, v[10:11], off
	global_load_b32 v14, v[12:13], off
	s_wait_xcnt 0x1
	v_add_nc_u64_e32 v[10:11], 0x100, v[10:11]
	s_wait_loadcnt 0x0
	v_fmac_f32_e32 v1, v0, v14
	s_and_not1_b32 exec_lo, exec_lo, s5
	s_cbranch_execnz .LBB7_3
; %bb.4:
	s_or_b32 exec_lo, exec_lo, s5
.LBB7_5:
	s_delay_alu instid0(SALU_CYCLE_1) | instskip(SKIP_1) | instid1(VALU_DEP_1)
	s_or_b32 exec_lo, exec_lo, s4
	v_mbcnt_lo_u32_b32 v0, -1, 0
	v_lshlrev_b32_e32 v2, 2, v0
	v_cmp_gt_u32_e32 vcc_lo, 48, v0
	ds_bpermute_b32 v2, v2, v1 offset:128
	v_cndmask_b32_e64 v3, 0, 16, vcc_lo
	v_cmp_gt_u32_e32 vcc_lo, 56, v0
	s_delay_alu instid0(VALU_DEP_2)
	v_add_lshl_u32 v3, v3, v0, 2
	s_wait_dscnt 0x0
	v_add_f32_e32 v1, v1, v2
	ds_bpermute_b32 v2, v3, v1
	v_cndmask_b32_e64 v3, 0, 8, vcc_lo
	v_cmp_gt_u32_e32 vcc_lo, 60, v0
	s_delay_alu instid0(VALU_DEP_2)
	v_add_lshl_u32 v3, v3, v0, 2
	s_wait_dscnt 0x0
	v_add_f32_e32 v1, v1, v2
	ds_bpermute_b32 v2, v3, v1
	;; [unrolled: 7-line block ×3, first 2 shown]
	v_cndmask_b32_e64 v3, 0, 2, vcc_lo
	v_cmp_ne_u32_e32 vcc_lo, 63, v0
	s_delay_alu instid0(VALU_DEP_2) | instskip(SKIP_2) | instid1(VALU_DEP_1)
	v_add_lshl_u32 v3, v3, v0, 2
	v_add_co_ci_u32_e64 v0, null, 0, v0, vcc_lo
	s_wait_dscnt 0x0
	v_dual_add_f32 v1, v1, v2 :: v_dual_lshlrev_b32 v0, 2, v0
	ds_bpermute_b32 v2, v3, v1
	s_wait_dscnt 0x0
	v_add_f32_e32 v1, v1, v2
	ds_bpermute_b32 v0, v0, v1
	s_wait_dscnt 0x0
	v_add_f32_e32 v2, v1, v0
	s_wait_kmcnt 0x0
	v_lshl_add_u64 v[0:1], v[6:7], 2, s[2:3]
	global_store_b32 v[0:1], v2, off
.LBB7_6:
	s_endpgm
	.section	.rodata,"a",@progbits
	.p2align	6, 0x0
	.amdhsa_kernel _Z13vector_mv_csrILi64EEvmPKmS1_PKfS3_Pf
		.amdhsa_group_segment_fixed_size 0
		.amdhsa_private_segment_fixed_size 0
		.amdhsa_kernarg_size 304
		.amdhsa_user_sgpr_count 2
		.amdhsa_user_sgpr_dispatch_ptr 0
		.amdhsa_user_sgpr_queue_ptr 0
		.amdhsa_user_sgpr_kernarg_segment_ptr 1
		.amdhsa_user_sgpr_dispatch_id 0
		.amdhsa_user_sgpr_kernarg_preload_length 0
		.amdhsa_user_sgpr_kernarg_preload_offset 0
		.amdhsa_user_sgpr_private_segment_size 0
		.amdhsa_wavefront_size32 1
		.amdhsa_uses_dynamic_stack 0
		.amdhsa_enable_private_segment 0
		.amdhsa_system_sgpr_workgroup_id_x 1
		.amdhsa_system_sgpr_workgroup_id_y 0
		.amdhsa_system_sgpr_workgroup_id_z 0
		.amdhsa_system_sgpr_workgroup_info 0
		.amdhsa_system_vgpr_workitem_id 1
		.amdhsa_next_free_vgpr 15
		.amdhsa_next_free_sgpr 13
		.amdhsa_named_barrier_count 0
		.amdhsa_reserve_vcc 1
		.amdhsa_float_round_mode_32 0
		.amdhsa_float_round_mode_16_64 0
		.amdhsa_float_denorm_mode_32 3
		.amdhsa_float_denorm_mode_16_64 3
		.amdhsa_fp16_overflow 0
		.amdhsa_memory_ordered 1
		.amdhsa_forward_progress 1
		.amdhsa_inst_pref_size 5
		.amdhsa_round_robin_scheduling 0
		.amdhsa_exception_fp_ieee_invalid_op 0
		.amdhsa_exception_fp_denorm_src 0
		.amdhsa_exception_fp_ieee_div_zero 0
		.amdhsa_exception_fp_ieee_overflow 0
		.amdhsa_exception_fp_ieee_underflow 0
		.amdhsa_exception_fp_ieee_inexact 0
		.amdhsa_exception_int_div_zero 0
	.end_amdhsa_kernel
	.section	.text._Z13vector_mv_csrILi64EEvmPKmS1_PKfS3_Pf,"axG",@progbits,_Z13vector_mv_csrILi64EEvmPKmS1_PKfS3_Pf,comdat
.Lfunc_end7:
	.size	_Z13vector_mv_csrILi64EEvmPKmS1_PKfS3_Pf, .Lfunc_end7-_Z13vector_mv_csrILi64EEvmPKmS1_PKfS3_Pf
                                        ; -- End function
	.set _Z13vector_mv_csrILi64EEvmPKmS1_PKfS3_Pf.num_vgpr, 15
	.set _Z13vector_mv_csrILi64EEvmPKmS1_PKfS3_Pf.num_agpr, 0
	.set _Z13vector_mv_csrILi64EEvmPKmS1_PKfS3_Pf.numbered_sgpr, 13
	.set _Z13vector_mv_csrILi64EEvmPKmS1_PKfS3_Pf.num_named_barrier, 0
	.set _Z13vector_mv_csrILi64EEvmPKmS1_PKfS3_Pf.private_seg_size, 0
	.set _Z13vector_mv_csrILi64EEvmPKmS1_PKfS3_Pf.uses_vcc, 1
	.set _Z13vector_mv_csrILi64EEvmPKmS1_PKfS3_Pf.uses_flat_scratch, 0
	.set _Z13vector_mv_csrILi64EEvmPKmS1_PKfS3_Pf.has_dyn_sized_stack, 0
	.set _Z13vector_mv_csrILi64EEvmPKmS1_PKfS3_Pf.has_recursion, 0
	.set _Z13vector_mv_csrILi64EEvmPKmS1_PKfS3_Pf.has_indirect_call, 0
	.section	.AMDGPU.csdata,"",@progbits
; Kernel info:
; codeLenInByte = 560
; TotalNumSgprs: 15
; NumVgprs: 15
; ScratchSize: 0
; MemoryBound: 0
; FloatMode: 240
; IeeeMode: 1
; LDSByteSize: 0 bytes/workgroup (compile time only)
; SGPRBlocks: 0
; VGPRBlocks: 0
; NumSGPRsForWavesPerEU: 15
; NumVGPRsForWavesPerEU: 15
; NamedBarCnt: 0
; Occupancy: 16
; WaveLimiterHint : 1
; COMPUTE_PGM_RSRC2:SCRATCH_EN: 0
; COMPUTE_PGM_RSRC2:USER_SGPR: 2
; COMPUTE_PGM_RSRC2:TRAP_HANDLER: 0
; COMPUTE_PGM_RSRC2:TGID_X_EN: 1
; COMPUTE_PGM_RSRC2:TGID_Y_EN: 0
; COMPUTE_PGM_RSRC2:TGID_Z_EN: 0
; COMPUTE_PGM_RSRC2:TIDIG_COMP_CNT: 1
	.text
	.p2alignl 7, 3214868480
	.fill 96, 4, 3214868480
	.section	.AMDGPU.gpr_maximums,"",@progbits
	.set amdgpu.max_num_vgpr, 0
	.set amdgpu.max_num_agpr, 0
	.set amdgpu.max_num_sgpr, 0
	.text
	.type	__hip_cuid_1cdc47acbd4b860b,@object ; @__hip_cuid_1cdc47acbd4b860b
	.section	.bss,"aw",@nobits
	.globl	__hip_cuid_1cdc47acbd4b860b
__hip_cuid_1cdc47acbd4b860b:
	.byte	0                               ; 0x0
	.size	__hip_cuid_1cdc47acbd4b860b, 1

	.ident	"AMD clang version 22.0.0git (https://github.com/RadeonOpenCompute/llvm-project roc-7.2.4 26084 f58b06dce1f9c15707c5f808fd002e18c2accf7e)"
	.section	".note.GNU-stack","",@progbits
	.addrsig
	.addrsig_sym __hip_cuid_1cdc47acbd4b860b
	.amdgpu_metadata
---
amdhsa.kernels:
  - .args:
      - .offset:         0
        .size:           8
        .value_kind:     by_value
      - .address_space:  global
        .offset:         8
        .size:           8
        .value_kind:     global_buffer
      - .address_space:  global
        .offset:         16
        .size:           8
        .value_kind:     global_buffer
      - .address_space:  global
        .offset:         24
        .size:           8
        .value_kind:     global_buffer
      - .address_space:  global
        .offset:         32
        .size:           8
        .value_kind:     global_buffer
      - .address_space:  global
        .offset:         40
        .size:           8
        .value_kind:     global_buffer
      - .offset:         48
        .size:           4
        .value_kind:     hidden_block_count_x
      - .offset:         52
        .size:           4
        .value_kind:     hidden_block_count_y
      - .offset:         56
        .size:           4
        .value_kind:     hidden_block_count_z
      - .offset:         60
        .size:           2
        .value_kind:     hidden_group_size_x
      - .offset:         62
        .size:           2
        .value_kind:     hidden_group_size_y
      - .offset:         64
        .size:           2
        .value_kind:     hidden_group_size_z
      - .offset:         66
        .size:           2
        .value_kind:     hidden_remainder_x
      - .offset:         68
        .size:           2
        .value_kind:     hidden_remainder_y
      - .offset:         70
        .size:           2
        .value_kind:     hidden_remainder_z
      - .offset:         88
        .size:           8
        .value_kind:     hidden_global_offset_x
      - .offset:         96
        .size:           8
        .value_kind:     hidden_global_offset_y
      - .offset:         104
        .size:           8
        .value_kind:     hidden_global_offset_z
      - .offset:         112
        .size:           2
        .value_kind:     hidden_grid_dims
    .group_segment_fixed_size: 0
    .kernarg_segment_align: 8
    .kernarg_segment_size: 304
    .language:       OpenCL C
    .language_version:
      - 2
      - 0
    .max_flat_workgroup_size: 1024
    .name:           _Z6mv_csrmPKmS0_PKfS2_Pf
    .private_segment_fixed_size: 0
    .sgpr_count:     16
    .sgpr_spill_count: 0
    .symbol:         _Z6mv_csrmPKmS0_PKfS2_Pf.kd
    .uniform_work_group_size: 1
    .uses_dynamic_stack: false
    .vgpr_count:     15
    .vgpr_spill_count: 0
    .wavefront_size: 32
  - .args:
      - .offset:         0
        .size:           8
        .value_kind:     by_value
      - .address_space:  global
        .offset:         8
        .size:           8
        .value_kind:     global_buffer
      - .address_space:  global
        .offset:         16
        .size:           8
        .value_kind:     global_buffer
      - .address_space:  global
        .offset:         24
        .size:           8
        .value_kind:     global_buffer
      - .offset:         32
        .size:           4
        .value_kind:     hidden_block_count_x
      - .offset:         36
        .size:           4
        .value_kind:     hidden_block_count_y
      - .offset:         40
        .size:           4
        .value_kind:     hidden_block_count_z
      - .offset:         44
        .size:           2
        .value_kind:     hidden_group_size_x
      - .offset:         46
        .size:           2
        .value_kind:     hidden_group_size_y
      - .offset:         48
        .size:           2
        .value_kind:     hidden_group_size_z
      - .offset:         50
        .size:           2
        .value_kind:     hidden_remainder_x
      - .offset:         52
        .size:           2
        .value_kind:     hidden_remainder_y
      - .offset:         54
        .size:           2
        .value_kind:     hidden_remainder_z
      - .offset:         72
        .size:           8
        .value_kind:     hidden_global_offset_x
      - .offset:         80
        .size:           8
        .value_kind:     hidden_global_offset_y
      - .offset:         88
        .size:           8
        .value_kind:     hidden_global_offset_z
      - .offset:         96
        .size:           2
        .value_kind:     hidden_grid_dims
    .group_segment_fixed_size: 0
    .kernarg_segment_align: 8
    .kernarg_segment_size: 288
    .language:       OpenCL C
    .language_version:
      - 2
      - 0
    .max_flat_workgroup_size: 1024
    .name:           _Z8mv_densemPKfS0_Pf
    .private_segment_fixed_size: 0
    .sgpr_count:     13
    .sgpr_spill_count: 0
    .symbol:         _Z8mv_densemPKfS0_Pf.kd
    .uniform_work_group_size: 1
    .uses_dynamic_stack: false
    .vgpr_count:     6
    .vgpr_spill_count: 0
    .wavefront_size: 32
  - .args:
      - .offset:         0
        .size:           8
        .value_kind:     by_value
      - .address_space:  global
        .offset:         8
        .size:           8
        .value_kind:     global_buffer
      - .address_space:  global
        .offset:         16
        .size:           8
        .value_kind:     global_buffer
      - .address_space:  global
        .offset:         24
        .size:           8
        .value_kind:     global_buffer
      - .address_space:  global
        .offset:         32
        .size:           8
        .value_kind:     global_buffer
      - .address_space:  global
        .offset:         40
        .size:           8
        .value_kind:     global_buffer
      - .offset:         48
        .size:           4
        .value_kind:     hidden_block_count_x
      - .offset:         52
        .size:           4
        .value_kind:     hidden_block_count_y
      - .offset:         56
        .size:           4
        .value_kind:     hidden_block_count_z
      - .offset:         60
        .size:           2
        .value_kind:     hidden_group_size_x
      - .offset:         62
        .size:           2
        .value_kind:     hidden_group_size_y
      - .offset:         64
        .size:           2
        .value_kind:     hidden_group_size_z
      - .offset:         66
        .size:           2
        .value_kind:     hidden_remainder_x
      - .offset:         68
        .size:           2
        .value_kind:     hidden_remainder_y
      - .offset:         70
        .size:           2
        .value_kind:     hidden_remainder_z
      - .offset:         88
        .size:           8
        .value_kind:     hidden_global_offset_x
      - .offset:         96
        .size:           8
        .value_kind:     hidden_global_offset_y
      - .offset:         104
        .size:           8
        .value_kind:     hidden_global_offset_z
      - .offset:         112
        .size:           2
        .value_kind:     hidden_grid_dims
    .group_segment_fixed_size: 0
    .kernarg_segment_align: 8
    .kernarg_segment_size: 304
    .language:       OpenCL C
    .language_version:
      - 2
      - 0
    .max_flat_workgroup_size: 1024
    .name:           _Z13vector_mv_csrILi2EEvmPKmS1_PKfS3_Pf
    .private_segment_fixed_size: 0
    .sgpr_count:     15
    .sgpr_spill_count: 0
    .symbol:         _Z13vector_mv_csrILi2EEvmPKmS1_PKfS3_Pf.kd
    .uniform_work_group_size: 1
    .uses_dynamic_stack: false
    .vgpr_count:     15
    .vgpr_spill_count: 0
    .wavefront_size: 32
  - .args:
      - .offset:         0
        .size:           8
        .value_kind:     by_value
      - .address_space:  global
        .offset:         8
        .size:           8
        .value_kind:     global_buffer
      - .address_space:  global
        .offset:         16
        .size:           8
        .value_kind:     global_buffer
      - .address_space:  global
        .offset:         24
        .size:           8
        .value_kind:     global_buffer
      - .address_space:  global
        .offset:         32
        .size:           8
        .value_kind:     global_buffer
      - .address_space:  global
        .offset:         40
        .size:           8
        .value_kind:     global_buffer
      - .offset:         48
        .size:           4
        .value_kind:     hidden_block_count_x
      - .offset:         52
        .size:           4
        .value_kind:     hidden_block_count_y
      - .offset:         56
        .size:           4
        .value_kind:     hidden_block_count_z
      - .offset:         60
        .size:           2
        .value_kind:     hidden_group_size_x
      - .offset:         62
        .size:           2
        .value_kind:     hidden_group_size_y
      - .offset:         64
        .size:           2
        .value_kind:     hidden_group_size_z
      - .offset:         66
        .size:           2
        .value_kind:     hidden_remainder_x
      - .offset:         68
        .size:           2
        .value_kind:     hidden_remainder_y
      - .offset:         70
        .size:           2
        .value_kind:     hidden_remainder_z
      - .offset:         88
        .size:           8
        .value_kind:     hidden_global_offset_x
      - .offset:         96
        .size:           8
        .value_kind:     hidden_global_offset_y
      - .offset:         104
        .size:           8
        .value_kind:     hidden_global_offset_z
      - .offset:         112
        .size:           2
        .value_kind:     hidden_grid_dims
    .group_segment_fixed_size: 0
    .kernarg_segment_align: 8
    .kernarg_segment_size: 304
    .language:       OpenCL C
    .language_version:
      - 2
      - 0
    .max_flat_workgroup_size: 1024
    .name:           _Z13vector_mv_csrILi4EEvmPKmS1_PKfS3_Pf
    .private_segment_fixed_size: 0
    .sgpr_count:     15
    .sgpr_spill_count: 0
    .symbol:         _Z13vector_mv_csrILi4EEvmPKmS1_PKfS3_Pf.kd
    .uniform_work_group_size: 1
    .uses_dynamic_stack: false
    .vgpr_count:     15
    .vgpr_spill_count: 0
    .wavefront_size: 32
  - .args:
      - .offset:         0
        .size:           8
        .value_kind:     by_value
      - .address_space:  global
        .offset:         8
        .size:           8
        .value_kind:     global_buffer
      - .address_space:  global
        .offset:         16
        .size:           8
        .value_kind:     global_buffer
      - .address_space:  global
        .offset:         24
        .size:           8
        .value_kind:     global_buffer
      - .address_space:  global
        .offset:         32
        .size:           8
        .value_kind:     global_buffer
      - .address_space:  global
        .offset:         40
        .size:           8
        .value_kind:     global_buffer
      - .offset:         48
        .size:           4
        .value_kind:     hidden_block_count_x
      - .offset:         52
        .size:           4
        .value_kind:     hidden_block_count_y
      - .offset:         56
        .size:           4
        .value_kind:     hidden_block_count_z
      - .offset:         60
        .size:           2
        .value_kind:     hidden_group_size_x
      - .offset:         62
        .size:           2
        .value_kind:     hidden_group_size_y
      - .offset:         64
        .size:           2
        .value_kind:     hidden_group_size_z
      - .offset:         66
        .size:           2
        .value_kind:     hidden_remainder_x
      - .offset:         68
        .size:           2
        .value_kind:     hidden_remainder_y
      - .offset:         70
        .size:           2
        .value_kind:     hidden_remainder_z
      - .offset:         88
        .size:           8
        .value_kind:     hidden_global_offset_x
      - .offset:         96
        .size:           8
        .value_kind:     hidden_global_offset_y
      - .offset:         104
        .size:           8
        .value_kind:     hidden_global_offset_z
      - .offset:         112
        .size:           2
        .value_kind:     hidden_grid_dims
    .group_segment_fixed_size: 0
    .kernarg_segment_align: 8
    .kernarg_segment_size: 304
    .language:       OpenCL C
    .language_version:
      - 2
      - 0
    .max_flat_workgroup_size: 1024
    .name:           _Z13vector_mv_csrILi8EEvmPKmS1_PKfS3_Pf
    .private_segment_fixed_size: 0
    .sgpr_count:     15
    .sgpr_spill_count: 0
    .symbol:         _Z13vector_mv_csrILi8EEvmPKmS1_PKfS3_Pf.kd
    .uniform_work_group_size: 1
    .uses_dynamic_stack: false
    .vgpr_count:     15
    .vgpr_spill_count: 0
    .wavefront_size: 32
  - .args:
      - .offset:         0
        .size:           8
        .value_kind:     by_value
      - .address_space:  global
        .offset:         8
        .size:           8
        .value_kind:     global_buffer
      - .address_space:  global
        .offset:         16
        .size:           8
        .value_kind:     global_buffer
      - .address_space:  global
        .offset:         24
        .size:           8
        .value_kind:     global_buffer
      - .address_space:  global
        .offset:         32
        .size:           8
        .value_kind:     global_buffer
      - .address_space:  global
        .offset:         40
        .size:           8
        .value_kind:     global_buffer
      - .offset:         48
        .size:           4
        .value_kind:     hidden_block_count_x
      - .offset:         52
        .size:           4
        .value_kind:     hidden_block_count_y
      - .offset:         56
        .size:           4
        .value_kind:     hidden_block_count_z
      - .offset:         60
        .size:           2
        .value_kind:     hidden_group_size_x
      - .offset:         62
        .size:           2
        .value_kind:     hidden_group_size_y
      - .offset:         64
        .size:           2
        .value_kind:     hidden_group_size_z
      - .offset:         66
        .size:           2
        .value_kind:     hidden_remainder_x
      - .offset:         68
        .size:           2
        .value_kind:     hidden_remainder_y
      - .offset:         70
        .size:           2
        .value_kind:     hidden_remainder_z
      - .offset:         88
        .size:           8
        .value_kind:     hidden_global_offset_x
      - .offset:         96
        .size:           8
        .value_kind:     hidden_global_offset_y
      - .offset:         104
        .size:           8
        .value_kind:     hidden_global_offset_z
      - .offset:         112
        .size:           2
        .value_kind:     hidden_grid_dims
    .group_segment_fixed_size: 0
    .kernarg_segment_align: 8
    .kernarg_segment_size: 304
    .language:       OpenCL C
    .language_version:
      - 2
      - 0
    .max_flat_workgroup_size: 1024
    .name:           _Z13vector_mv_csrILi16EEvmPKmS1_PKfS3_Pf
    .private_segment_fixed_size: 0
    .sgpr_count:     15
    .sgpr_spill_count: 0
    .symbol:         _Z13vector_mv_csrILi16EEvmPKmS1_PKfS3_Pf.kd
    .uniform_work_group_size: 1
    .uses_dynamic_stack: false
    .vgpr_count:     15
    .vgpr_spill_count: 0
    .wavefront_size: 32
  - .args:
      - .offset:         0
        .size:           8
        .value_kind:     by_value
      - .address_space:  global
        .offset:         8
        .size:           8
        .value_kind:     global_buffer
      - .address_space:  global
        .offset:         16
        .size:           8
        .value_kind:     global_buffer
      - .address_space:  global
        .offset:         24
        .size:           8
        .value_kind:     global_buffer
      - .address_space:  global
        .offset:         32
        .size:           8
        .value_kind:     global_buffer
      - .address_space:  global
        .offset:         40
        .size:           8
        .value_kind:     global_buffer
      - .offset:         48
        .size:           4
        .value_kind:     hidden_block_count_x
      - .offset:         52
        .size:           4
        .value_kind:     hidden_block_count_y
      - .offset:         56
        .size:           4
        .value_kind:     hidden_block_count_z
      - .offset:         60
        .size:           2
        .value_kind:     hidden_group_size_x
      - .offset:         62
        .size:           2
        .value_kind:     hidden_group_size_y
      - .offset:         64
        .size:           2
        .value_kind:     hidden_group_size_z
      - .offset:         66
        .size:           2
        .value_kind:     hidden_remainder_x
      - .offset:         68
        .size:           2
        .value_kind:     hidden_remainder_y
      - .offset:         70
        .size:           2
        .value_kind:     hidden_remainder_z
      - .offset:         88
        .size:           8
        .value_kind:     hidden_global_offset_x
      - .offset:         96
        .size:           8
        .value_kind:     hidden_global_offset_y
      - .offset:         104
        .size:           8
        .value_kind:     hidden_global_offset_z
      - .offset:         112
        .size:           2
        .value_kind:     hidden_grid_dims
    .group_segment_fixed_size: 0
    .kernarg_segment_align: 8
    .kernarg_segment_size: 304
    .language:       OpenCL C
    .language_version:
      - 2
      - 0
    .max_flat_workgroup_size: 1024
    .name:           _Z13vector_mv_csrILi32EEvmPKmS1_PKfS3_Pf
    .private_segment_fixed_size: 0
    .sgpr_count:     15
    .sgpr_spill_count: 0
    .symbol:         _Z13vector_mv_csrILi32EEvmPKmS1_PKfS3_Pf.kd
    .uniform_work_group_size: 1
    .uses_dynamic_stack: false
    .vgpr_count:     15
    .vgpr_spill_count: 0
    .wavefront_size: 32
  - .args:
      - .offset:         0
        .size:           8
        .value_kind:     by_value
      - .address_space:  global
        .offset:         8
        .size:           8
        .value_kind:     global_buffer
      - .address_space:  global
        .offset:         16
        .size:           8
        .value_kind:     global_buffer
      - .address_space:  global
        .offset:         24
        .size:           8
        .value_kind:     global_buffer
      - .address_space:  global
        .offset:         32
        .size:           8
        .value_kind:     global_buffer
      - .address_space:  global
        .offset:         40
        .size:           8
        .value_kind:     global_buffer
      - .offset:         48
        .size:           4
        .value_kind:     hidden_block_count_x
      - .offset:         52
        .size:           4
        .value_kind:     hidden_block_count_y
      - .offset:         56
        .size:           4
        .value_kind:     hidden_block_count_z
      - .offset:         60
        .size:           2
        .value_kind:     hidden_group_size_x
      - .offset:         62
        .size:           2
        .value_kind:     hidden_group_size_y
      - .offset:         64
        .size:           2
        .value_kind:     hidden_group_size_z
      - .offset:         66
        .size:           2
        .value_kind:     hidden_remainder_x
      - .offset:         68
        .size:           2
        .value_kind:     hidden_remainder_y
      - .offset:         70
        .size:           2
        .value_kind:     hidden_remainder_z
      - .offset:         88
        .size:           8
        .value_kind:     hidden_global_offset_x
      - .offset:         96
        .size:           8
        .value_kind:     hidden_global_offset_y
      - .offset:         104
        .size:           8
        .value_kind:     hidden_global_offset_z
      - .offset:         112
        .size:           2
        .value_kind:     hidden_grid_dims
    .group_segment_fixed_size: 0
    .kernarg_segment_align: 8
    .kernarg_segment_size: 304
    .language:       OpenCL C
    .language_version:
      - 2
      - 0
    .max_flat_workgroup_size: 1024
    .name:           _Z13vector_mv_csrILi64EEvmPKmS1_PKfS3_Pf
    .private_segment_fixed_size: 0
    .sgpr_count:     15
    .sgpr_spill_count: 0
    .symbol:         _Z13vector_mv_csrILi64EEvmPKmS1_PKfS3_Pf.kd
    .uniform_work_group_size: 1
    .uses_dynamic_stack: false
    .vgpr_count:     15
    .vgpr_spill_count: 0
    .wavefront_size: 32
amdhsa.target:   amdgcn-amd-amdhsa--gfx1250
amdhsa.version:
  - 1
  - 2
...

	.end_amdgpu_metadata
